;; amdgpu-corpus repo=ROCm/rocFFT kind=compiled arch=gfx950 opt=O3
	.text
	.amdgcn_target "amdgcn-amd-amdhsa--gfx950"
	.amdhsa_code_object_version 6
	.protected	bluestein_single_fwd_len216_dim1_sp_op_CI_CI ; -- Begin function bluestein_single_fwd_len216_dim1_sp_op_CI_CI
	.globl	bluestein_single_fwd_len216_dim1_sp_op_CI_CI
	.p2align	8
	.type	bluestein_single_fwd_len216_dim1_sp_op_CI_CI,@function
bluestein_single_fwd_len216_dim1_sp_op_CI_CI: ; @bluestein_single_fwd_len216_dim1_sp_op_CI_CI
; %bb.0:
	s_load_dwordx4 s[16:19], s[0:1], 0x28
	v_mul_u32_u24_e32 v1, 0x71d, v0
	v_lshrrev_b32_e32 v2, 16, v1
	v_mad_u64_u32 v[16:17], s[2:3], s2, 7, v[2:3]
	v_mov_b32_e32 v17, 0
	s_waitcnt lgkmcnt(0)
	v_cmp_gt_u64_e32 vcc, s[16:17], v[16:17]
	s_and_saveexec_b64 s[2:3], vcc
	s_cbranch_execz .LBB0_2
; %bb.1:
	s_load_dwordx4 s[4:7], s[0:1], 0x18
	s_load_dwordx4 s[8:11], s[0:1], 0x0
	v_mul_lo_u16_e32 v1, 36, v2
	v_sub_u16_e32 v35, v0, v1
	v_mov_b32_e32 v4, s18
	s_waitcnt lgkmcnt(0)
	s_load_dwordx4 s[12:15], s[4:5], 0x0
	v_mov_b32_e32 v5, s19
	v_mov_b32_e32 v17, 0x120
	v_lshlrev_b32_e32 v41, 3, v35
	v_mul_lo_u16_e32 v14, 6, v35
	s_waitcnt lgkmcnt(0)
	v_mad_u64_u32 v[0:1], s[2:3], s14, v16, 0
	v_mov_b32_e32 v2, v1
	v_mad_u64_u32 v[2:3], s[2:3], s15, v16, v[2:3]
	v_mov_b32_e32 v1, v2
	v_mad_u64_u32 v[2:3], s[2:3], s12, v35, 0
	v_mov_b32_e32 v6, v3
	v_mad_u64_u32 v[6:7], s[2:3], s13, v35, v[6:7]
	v_mov_b32_e32 v3, v6
	v_lshl_add_u64 v[0:1], v[0:1], 3, v[4:5]
	v_lshl_add_u64 v[0:1], v[2:3], 3, v[0:1]
	global_load_dwordx2 v[2:3], v[0:1], off
	v_mad_u64_u32 v[0:1], s[2:3], s12, v17, v[0:1]
	s_mul_i32 s4, s13, 0x120
	v_add_u32_e32 v1, s4, v1
	v_mad_u64_u32 v[4:5], s[2:3], s12, v17, v[0:1]
	v_add_u32_e32 v5, s4, v5
	global_load_dwordx2 v[28:29], v41, s[8:9]
	global_load_dwordx2 v[26:27], v41, s[8:9] offset:288
	global_load_dwordx2 v[6:7], v[4:5], off
	v_mad_u64_u32 v[4:5], s[2:3], s12, v17, v[4:5]
	global_load_dwordx2 v[0:1], v[0:1], off
	v_add_u32_e32 v5, s4, v5
	global_load_dwordx2 v[24:25], v41, s[8:9] offset:576
	global_load_dwordx2 v[22:23], v41, s[8:9] offset:864
	global_load_dwordx2 v[8:9], v[4:5], off
	v_mad_u64_u32 v[4:5], s[2:3], s12, v17, v[4:5]
	v_add_u32_e32 v5, s4, v5
	global_load_dwordx2 v[10:11], v[4:5], off
	global_load_dwordx2 v[20:21], v41, s[8:9] offset:1152
	v_mad_u64_u32 v[4:5], s[2:3], s12, v17, v[4:5]
	v_add_u32_e32 v5, s4, v5
	global_load_dwordx2 v[18:19], v41, s[8:9] offset:1440
	global_load_dwordx2 v[12:13], v[4:5], off
	s_mov_b32 s4, 0x24924925
	v_mul_hi_u32 v4, v16, s4
	v_sub_u32_e32 v5, v16, v4
	v_lshrrev_b32_e32 v5, 1, v5
	v_add_u32_e32 v4, v5, v4
	v_lshrrev_b32_e32 v4, 2, v4
	v_mul_lo_u32 v4, v4, 7
	v_sub_u32_e32 v4, v16, v4
	v_mul_u32_u24_e32 v4, 0xd8, v4
	v_lshlrev_b32_e32 v34, 3, v4
	v_add_u32_e32 v37, v41, v34
	s_load_dwordx4 s[4:7], s[6:7], 0x0
	s_mov_b32 s2, 0x3f5db3d7
	s_mov_b32 s3, 0xbf5db3d7
	v_lshl_add_u32 v39, v14, 3, v34
	s_mov_b32 s14, 0.5
	s_mov_b32 s15, s2
	s_mov_b32 s12, s2
	;; [unrolled: 1-line block ×3, first 2 shown]
	s_movk_i32 s16, 0xab
	s_load_dwordx2 s[0:1], s[0:1], 0x38
	s_waitcnt vmcnt(10)
	v_mul_f32_e32 v4, v3, v29
	v_mul_f32_e32 v5, v2, v29
	v_fmac_f32_e32 v4, v2, v28
	v_fma_f32 v5, v3, v28, -v5
	s_waitcnt vmcnt(7)
	v_mul_f32_e32 v2, v1, v27
	v_mul_f32_e32 v3, v0, v27
	v_fmac_f32_e32 v2, v0, v26
	v_fma_f32 v3, v1, v26, -v3
	ds_write2_b64 v37, v[4:5], v[2:3] offset1:36
	s_waitcnt vmcnt(6)
	v_mul_f32_e32 v0, v7, v25
	v_mul_f32_e32 v1, v6, v25
	s_waitcnt vmcnt(4)
	v_mul_f32_e32 v2, v9, v23
	v_mul_f32_e32 v3, v8, v23
	v_fmac_f32_e32 v0, v6, v24
	v_fma_f32 v1, v7, v24, -v1
	v_fmac_f32_e32 v2, v8, v22
	v_fma_f32 v3, v9, v22, -v3
	ds_write2_b64 v37, v[0:1], v[2:3] offset0:72 offset1:108
	s_waitcnt vmcnt(2)
	v_mul_f32_e32 v0, v11, v21
	v_mul_f32_e32 v1, v10, v21
	s_waitcnt vmcnt(0)
	v_mul_f32_e32 v2, v13, v19
	v_mul_f32_e32 v3, v12, v19
	v_fmac_f32_e32 v0, v10, v20
	v_fma_f32 v1, v11, v20, -v1
	v_fmac_f32_e32 v2, v12, v18
	v_fma_f32 v3, v13, v18, -v3
	ds_write2_b64 v37, v[0:1], v[2:3] offset0:144 offset1:180
	s_waitcnt lgkmcnt(0)
	s_barrier
	ds_read2_b64 v[0:3], v37 offset1:36
	ds_read2_b64 v[4:7], v37 offset0:72 offset1:108
	ds_read2_b64 v[8:11], v37 offset0:144 offset1:180
	s_waitcnt lgkmcnt(0)
	s_barrier
	v_pk_add_f32 v[12:13], v[0:1], v[4:5]
	v_pk_add_f32 v[14:15], v[2:3], v[6:7]
	;; [unrolled: 1-line block ×3, first 2 shown]
	v_pk_add_f32 v[4:5], v[4:5], v[8:9] neg_lo:[0,1] neg_hi:[0,1]
	v_pk_add_f32 v[32:33], v[6:7], v[10:11]
	v_pk_add_f32 v[8:9], v[12:13], v[8:9]
	;; [unrolled: 1-line block ×3, first 2 shown]
	v_pk_fma_f32 v[14:15], v[30:31], 0.5, v[0:1] op_sel_hi:[1,0,1] neg_lo:[1,0,0] neg_hi:[1,0,0]
	v_pk_mul_f32 v[4:5], v[4:5], s[2:3] op_sel_hi:[1,0]
	v_pk_fma_f32 v[2:3], v[32:33], 0.5, v[2:3] op_sel_hi:[1,0,1] neg_lo:[1,0,0] neg_hi:[1,0,0]
	v_pk_add_f32 v[30:31], v[14:15], v[4:5] op_sel:[0,1] op_sel_hi:[1,0]
	v_pk_add_f32 v[14:15], v[14:15], v[4:5] op_sel:[0,1] op_sel_hi:[1,0] neg_lo:[0,1] neg_hi:[0,1]
	v_pk_add_f32 v[4:5], v[6:7], v[10:11] neg_lo:[0,1] neg_hi:[0,1]
	v_mov_b32_e32 v42, v30
	v_pk_fma_f32 v[6:7], v[4:5], s[2:3], v[2:3] op_sel:[0,0,1] op_sel_hi:[1,0,0]
	v_pk_fma_f32 v[2:3], v[4:5], s[2:3], v[2:3] op_sel:[0,0,1] op_sel_hi:[1,0,0] neg_lo:[1,0,0] neg_hi:[1,0,0]
	v_mov_b32_e32 v4, v6
	v_mov_b32_e32 v5, v3
	v_pk_mul_f32 v[10:11], v[4:5], 0.5 op_sel_hi:[1,0]
	v_mov_b32_e32 v43, v15
	v_pk_fma_f32 v[10:11], v[4:5], s[2:3], v[10:11] op_sel:[0,0,1] op_sel_hi:[1,1,0] neg_lo:[0,0,1] neg_hi:[0,0,1]
	v_pk_mul_f32 v[4:5], v[6:7], s[14:15] op_sel:[1,0]
	v_mov_b32_e32 v15, v31
	v_pk_fma_f32 v[30:31], v[2:3], s[12:13], v[4:5]
	v_pk_fma_f32 v[2:3], v[2:3], s[12:13], v[4:5] op_sel_hi:[0,1,1] neg_lo:[0,0,1] neg_hi:[0,0,1]
	v_mov_b32_e32 v31, v3
	v_pk_add_f32 v[0:1], v[8:9], v[12:13]
	v_pk_add_f32 v[2:3], v[42:43], v[30:31]
	ds_write_b128 v39, v[0:3]
	v_pk_add_f32 v[0:1], v[42:43], v[30:31] neg_lo:[0,1] neg_hi:[0,1]
	v_pk_add_f32 v[2:3], v[14:15], v[10:11] neg_lo:[0,1] neg_hi:[0,1]
	ds_write_b128 v39, v[0:3] offset:32
	v_mul_lo_u16_sdwa v0, v35, s16 dst_sel:DWORD dst_unused:UNUSED_PAD src0_sel:BYTE_0 src1_sel:DWORD
	v_pk_add_f32 v[4:5], v[14:15], v[10:11]
	v_lshrrev_b16_e32 v10, 10, v0
	v_mul_lo_u16_e32 v0, 6, v10
	v_sub_u16_e32 v0, v35, v0
	v_and_b32_e32 v11, 0xff, v0
	v_pk_add_f32 v[6:7], v[8:9], v[12:13] neg_lo:[0,1] neg_hi:[0,1]
	v_mad_u64_u32 v[8:9], s[16:17], v11, 40, s[10:11]
	ds_write_b128 v39, v[4:7] offset:16
	s_waitcnt lgkmcnt(0)
	s_barrier
	global_load_dwordx4 v[4:7], v[8:9], off
	global_load_dwordx4 v[0:3], v[8:9], off offset:16
	global_load_dwordx2 v[30:31], v[8:9], off offset:32
	v_mul_u32_u24_e32 v8, 36, v10
	v_add_u32_e32 v8, v8, v11
	v_lshl_add_u32 v42, v8, 3, v34
	ds_read2_b64 v[8:11], v37 offset1:36
	ds_read2_b64 v[12:15], v37 offset0:72 offset1:108
	ds_read2_b64 v[44:47], v37 offset0:144 offset1:180
	s_waitcnt lgkmcnt(0)
	s_barrier
	s_waitcnt vmcnt(2)
	v_pk_mul_f32 v[32:33], v[10:11], v[4:5] op_sel:[0,1]
	v_mov_b32_e32 v36, v7
	s_waitcnt vmcnt(1)
	v_pk_mul_f32 v[48:49], v[14:15], v[0:1] op_sel:[0,1]
	v_mov_b32_e32 v34, v3
	s_waitcnt vmcnt(0)
	v_pk_mul_f32 v[50:51], v[46:47], v[30:31] op_sel:[0,1]
	v_pk_fma_f32 v[52:53], v[10:11], v[4:5], v[32:33] op_sel:[0,0,1] op_sel_hi:[1,1,0] neg_lo:[0,0,1] neg_hi:[0,0,1]
	v_pk_fma_f32 v[10:11], v[10:11], v[4:5], v[32:33] op_sel:[0,0,1] op_sel_hi:[1,0,0]
	v_pk_mul_f32 v[32:33], v[12:13], v[36:37] op_sel_hi:[1,0]
	v_pk_fma_f32 v[54:55], v[14:15], v[0:1], v[48:49] op_sel:[0,0,1] op_sel_hi:[1,1,0] neg_lo:[0,0,1] neg_hi:[0,0,1]
	v_pk_fma_f32 v[14:15], v[14:15], v[0:1], v[48:49] op_sel:[0,0,1] op_sel_hi:[1,0,0]
	v_pk_fma_f32 v[48:49], v[12:13], v[6:7], v[32:33] op_sel:[0,0,1] op_sel_hi:[1,1,0] neg_lo:[0,0,1] neg_hi:[0,0,1]
	v_pk_fma_f32 v[12:13], v[12:13], v[6:7], v[32:33] op_sel:[0,0,1] op_sel_hi:[1,0,0]
	v_pk_mul_f32 v[32:33], v[44:45], v[34:35] op_sel_hi:[1,0]
	v_pk_fma_f32 v[56:57], v[46:47], v[30:31], v[50:51] op_sel:[0,0,1] op_sel_hi:[1,1,0] neg_lo:[0,0,1] neg_hi:[0,0,1]
	v_pk_fma_f32 v[46:47], v[46:47], v[30:31], v[50:51] op_sel:[0,0,1] op_sel_hi:[1,0,0]
	v_mov_b32_e32 v53, v11
	v_mov_b32_e32 v55, v15
	v_pk_fma_f32 v[10:11], v[44:45], v[2:3], v[32:33] op_sel:[0,0,1] op_sel_hi:[1,1,0] neg_lo:[0,0,1] neg_hi:[0,0,1]
	v_pk_fma_f32 v[14:15], v[44:45], v[2:3], v[32:33] op_sel:[0,0,1] op_sel_hi:[1,0,0]
	v_mov_b32_e32 v57, v47
	v_mov_b32_e32 v49, v13
	;; [unrolled: 1-line block ×3, first 2 shown]
	v_pk_add_f32 v[14:15], v[54:55], v[56:57]
	v_pk_add_f32 v[32:33], v[54:55], v[56:57] neg_lo:[0,1] neg_hi:[0,1]
	v_pk_add_f32 v[44:45], v[8:9], v[48:49]
	v_pk_add_f32 v[46:47], v[48:49], v[10:11]
	v_pk_add_f32 v[48:49], v[48:49], v[10:11] neg_lo:[0,1] neg_hi:[0,1]
	v_pk_fma_f32 v[14:15], v[14:15], 0.5, v[52:53] op_sel_hi:[1,0,1] neg_lo:[1,0,0] neg_hi:[1,0,0]
	v_pk_add_f32 v[10:11], v[44:45], v[10:11]
	v_pk_fma_f32 v[8:9], v[46:47], 0.5, v[8:9] op_sel_hi:[1,0,1] neg_lo:[1,0,0] neg_hi:[1,0,0]
	v_pk_mul_f32 v[44:45], v[48:49], s[2:3] op_sel_hi:[1,0]
	v_pk_fma_f32 v[46:47], v[32:33], s[2:3], v[14:15] op_sel:[0,0,1] op_sel_hi:[1,0,0]
	v_pk_fma_f32 v[14:15], v[32:33], s[2:3], v[14:15] op_sel:[0,0,1] op_sel_hi:[1,0,0] neg_lo:[1,0,0] neg_hi:[1,0,0]
	v_pk_add_f32 v[48:49], v[44:45], v[8:9] op_sel:[1,0] op_sel_hi:[0,1]
	v_pk_add_f32 v[8:9], v[8:9], v[44:45] op_sel:[0,1] op_sel_hi:[1,0] neg_lo:[0,1] neg_hi:[0,1]
	v_mov_b32_e32 v44, v46
	v_mov_b32_e32 v45, v15
	v_mul_f32_e32 v40, 0xbf5db3d7, v47
	v_pk_add_f32 v[12:13], v[52:53], v[54:55]
	v_mul_f32_e32 v38, 0x3f5db3d7, v14
	v_fmac_f32_e32 v40, 0.5, v14
	v_pk_mul_f32 v[14:15], v[44:45], 0.5 op_sel_hi:[1,0]
	v_pk_add_f32 v[12:13], v[12:13], v[56:57]
	v_mov_b32_e32 v50, v8
	v_mov_b32_e32 v51, v49
	v_pk_fma_f32 v[14:15], v[44:45], s[2:3], v[14:15] op_sel:[0,0,1] op_sel_hi:[1,1,0] neg_lo:[0,0,1] neg_hi:[0,0,1]
	v_pk_add_f32 v[32:33], v[10:11], v[12:13]
	v_fmac_f32_e32 v38, 0.5, v47
	v_pk_add_f32 v[44:45], v[50:51], v[14:15]
	v_pk_add_f32 v[10:11], v[10:11], v[12:13] neg_lo:[0,1] neg_hi:[0,1]
	v_add_f32_e32 v46, v48, v38
	v_add_f32_e32 v47, v9, v40
	v_sub_f32_e32 v8, v48, v38
	v_sub_f32_e32 v9, v9, v40
	ds_write2_b64 v42, v[44:45], v[10:11] offset0:12 offset1:18
	v_pk_add_f32 v[10:11], v[50:51], v[14:15] neg_lo:[0,1] neg_hi:[0,1]
	v_mad_u64_u32 v[44:45], s[10:11], v35, 40, s[10:11]
	ds_write2_b64 v42, v[32:33], v[46:47] offset1:6
	ds_write2_b64 v42, v[8:9], v[10:11] offset0:24 offset1:30
	s_waitcnt lgkmcnt(0)
	s_barrier
	global_load_dwordx4 v[12:15], v[44:45], off offset:240
	global_load_dwordx4 v[8:11], v[44:45], off offset:256
	global_load_dwordx2 v[32:33], v[44:45], off offset:272
	ds_read2_b64 v[44:47], v37 offset0:72 offset1:108
	s_waitcnt vmcnt(2)
	v_mov_b32_e32 v38, v15
	s_waitcnt vmcnt(1) lgkmcnt(0)
	v_pk_mul_f32 v[48:49], v[46:47], v[8:9] op_sel:[0,1]
	v_pk_mul_f32 v[50:51], v[44:45], v[38:39] op_sel_hi:[1,0]
	v_pk_fma_f32 v[52:53], v[46:47], v[8:9], v[48:49] op_sel:[0,0,1] op_sel_hi:[1,1,0] neg_lo:[0,0,1] neg_hi:[0,0,1]
	v_pk_fma_f32 v[48:49], v[46:47], v[8:9], v[48:49] op_sel:[0,0,1] op_sel_hi:[1,0,0]
	v_pk_fma_f32 v[54:55], v[44:45], v[14:15], v[50:51] op_sel:[0,0,1] op_sel_hi:[1,1,0] neg_lo:[0,0,1] neg_hi:[0,0,1]
	v_pk_fma_f32 v[50:51], v[44:45], v[14:15], v[50:51] op_sel:[0,0,1] op_sel_hi:[1,0,0]
	ds_read2_b64 v[44:47], v37 offset0:144 offset1:180
	v_mov_b32_e32 v40, v11
	v_mov_b32_e32 v53, v49
	;; [unrolled: 1-line block ×3, first 2 shown]
	s_waitcnt vmcnt(0) lgkmcnt(0)
	v_pk_mul_f32 v[56:57], v[46:47], v[32:33] op_sel:[0,1]
	s_nop 0
	v_pk_fma_f32 v[58:59], v[46:47], v[32:33], v[56:57] op_sel:[0,0,1] op_sel_hi:[1,1,0] neg_lo:[0,0,1] neg_hi:[0,0,1]
	v_pk_fma_f32 v[56:57], v[46:47], v[32:33], v[56:57] op_sel:[0,0,1] op_sel_hi:[1,0,0]
	v_pk_mul_f32 v[46:47], v[44:45], v[40:41] op_sel_hi:[1,0]
	v_mov_b32_e32 v59, v57
	v_pk_fma_f32 v[60:61], v[44:45], v[10:11], v[46:47] op_sel:[0,0,1] op_sel_hi:[1,1,0] neg_lo:[0,0,1] neg_hi:[0,0,1]
	v_pk_fma_f32 v[62:63], v[44:45], v[10:11], v[46:47] op_sel:[0,0,1] op_sel_hi:[1,0,0]
	ds_read2_b64 v[44:47], v37 offset1:36
	v_mov_b32_e32 v61, v63
	v_pk_add_f32 v[50:51], v[52:53], v[58:59]
	s_waitcnt lgkmcnt(0)
	v_pk_mul_f32 v[64:65], v[46:47], v[12:13] op_sel:[0,1]
	s_nop 0
	v_pk_fma_f32 v[66:67], v[46:47], v[12:13], v[64:65] op_sel:[0,0,1] op_sel_hi:[1,1,0] neg_lo:[0,0,1] neg_hi:[0,0,1]
	v_pk_fma_f32 v[46:47], v[46:47], v[12:13], v[64:65] op_sel:[0,0,1] op_sel_hi:[1,0,0]
	s_nop 0
	v_mov_b32_e32 v67, v47
	v_pk_add_f32 v[46:47], v[54:55], v[60:61]
	v_pk_add_f32 v[48:49], v[66:67], v[52:53]
	v_pk_add_f32 v[52:53], v[52:53], v[58:59] neg_lo:[0,1] neg_hi:[0,1]
	v_pk_fma_f32 v[50:51], v[50:51], 0.5, v[66:67] op_sel_hi:[1,0,1] neg_lo:[1,0,0] neg_hi:[1,0,0]
	v_pk_fma_f32 v[46:47], v[46:47], 0.5, v[44:45] op_sel_hi:[1,0,1] neg_lo:[1,0,0] neg_hi:[1,0,0]
	v_pk_add_f32 v[44:45], v[44:45], v[54:55]
	v_pk_add_f32 v[54:55], v[54:55], v[60:61] neg_lo:[0,1] neg_hi:[0,1]
	v_pk_fma_f32 v[56:57], v[52:53], s[2:3], v[50:51] op_sel:[0,0,1] op_sel_hi:[1,0,0]
	v_pk_fma_f32 v[50:51], v[52:53], s[2:3], v[50:51] op_sel:[0,0,1] op_sel_hi:[1,0,0] neg_lo:[1,0,0] neg_hi:[1,0,0]
	v_pk_add_f32 v[48:49], v[48:49], v[58:59]
	v_pk_mul_f32 v[52:53], v[54:55], s[2:3] op_sel_hi:[1,0]
	v_mul_f32_e32 v43, 0x3f5db3d7, v50
	v_mul_f32_e32 v58, 0xbf5db3d7, v57
	v_pk_add_f32 v[44:45], v[44:45], v[60:61]
	v_pk_add_f32 v[54:55], v[52:53], v[46:47] op_sel:[1,0] op_sel_hi:[0,1]
	v_pk_add_f32 v[46:47], v[46:47], v[52:53] op_sel:[0,1] op_sel_hi:[1,0] neg_lo:[0,1] neg_hi:[0,1]
	v_fmac_f32_e32 v43, 0.5, v57
	v_mov_b32_e32 v57, v51
	v_fmac_f32_e32 v58, 0.5, v50
	v_pk_add_f32 v[52:53], v[44:45], v[48:49]
	v_pk_add_f32 v[44:45], v[44:45], v[48:49] neg_lo:[0,1] neg_hi:[0,1]
	v_add_f32_e32 v48, v54, v43
	v_add_f32_e32 v49, v47, v58
	v_sub_f32_e32 v50, v54, v43
	v_sub_f32_e32 v51, v47, v58
	v_mov_b32_e32 v54, v46
	v_pk_mul_f32 v[46:47], v[56:57], 0.5 op_sel_hi:[1,0]
	ds_write2_b64 v37, v[52:53], v[48:49] offset1:36
	v_pk_fma_f32 v[46:47], v[56:57], s[2:3], v[46:47] op_sel:[0,0,1] op_sel_hi:[1,1,0] neg_lo:[0,0,1] neg_hi:[0,0,1]
	s_nop 0
	v_pk_add_f32 v[48:49], v[54:55], v[46:47]
	v_pk_add_f32 v[46:47], v[54:55], v[46:47] neg_lo:[0,1] neg_hi:[0,1]
	ds_write2_b64 v37, v[48:49], v[44:45] offset0:72 offset1:108
	ds_write2_b64 v37, v[50:51], v[46:47] offset0:144 offset1:180
	s_waitcnt lgkmcnt(0)
	s_barrier
	global_load_dwordx2 v[48:49], v41, s[8:9] offset:1728
	s_add_u32 s8, s8, 0x6c0
	s_addc_u32 s9, s9, 0
	ds_read2_b64 v[44:47], v37 offset1:36
	global_load_dwordx2 v[50:51], v41, s[8:9] offset:288
	global_load_dwordx2 v[52:53], v41, s[8:9] offset:1440
	s_waitcnt vmcnt(2) lgkmcnt(0)
	v_mul_f32_e32 v43, v45, v49
	v_mul_f32_e32 v55, v44, v49
	v_fma_f32 v54, v44, v48, -v43
	v_fmac_f32_e32 v55, v45, v48
	global_load_dwordx2 v[48:49], v41, s[8:9] offset:576
	global_load_dwordx2 v[56:57], v41, s[8:9] offset:864
	;; [unrolled: 1-line block ×3, first 2 shown]
	s_waitcnt vmcnt(4)
	v_mul_f32_e32 v41, v47, v51
	v_mul_f32_e32 v61, v46, v51
	v_fma_f32 v60, v46, v50, -v41
	v_fmac_f32_e32 v61, v47, v50
	ds_read2_b64 v[44:47], v37 offset0:72 offset1:108
	s_mov_b32 s8, -0.5
	s_mov_b32 s9, s2
	s_waitcnt vmcnt(2) lgkmcnt(0)
	v_mul_f32_e32 v41, v45, v49
	v_fma_f32 v50, v44, v48, -v41
	v_mul_f32_e32 v51, v44, v49
	s_waitcnt vmcnt(1)
	v_mul_f32_e32 v41, v47, v57
	v_mul_f32_e32 v49, v46, v57
	v_fmac_f32_e32 v51, v45, v48
	v_fma_f32 v48, v46, v56, -v41
	v_fmac_f32_e32 v49, v47, v56
	ds_read2_b64 v[44:47], v37 offset0:144 offset1:180
	s_waitcnt vmcnt(0) lgkmcnt(0)
	v_mul_f32_e32 v41, v45, v59
	v_mul_f32_e32 v57, v44, v59
	v_fma_f32 v56, v44, v58, -v41
	v_fmac_f32_e32 v57, v45, v58
	v_mul_f32_e32 v41, v47, v53
	v_mul_f32_e32 v45, v46, v53
	v_fma_f32 v44, v46, v52, -v41
	v_fmac_f32_e32 v45, v47, v52
	ds_write2_b64 v37, v[54:55], v[60:61] offset1:36
	ds_write2_b64 v37, v[50:51], v[48:49] offset0:72 offset1:108
	ds_write2_b64 v37, v[56:57], v[44:45] offset0:144 offset1:180
	s_waitcnt lgkmcnt(0)
	s_barrier
	ds_read2_b64 v[44:47], v37 offset1:36
	ds_read2_b64 v[48:51], v37 offset0:72 offset1:108
	ds_read2_b64 v[52:55], v37 offset0:144 offset1:180
	s_waitcnt lgkmcnt(0)
	s_barrier
	v_pk_add_f32 v[56:57], v[44:45], v[48:49]
	v_pk_add_f32 v[58:59], v[50:51], v[54:55]
	v_pk_add_f32 v[60:61], v[50:51], v[54:55] neg_lo:[0,1] neg_hi:[0,1]
	v_pk_add_f32 v[50:51], v[46:47], v[50:51]
	v_pk_add_f32 v[62:63], v[48:49], v[52:53]
	v_pk_add_f32 v[48:49], v[48:49], v[52:53] neg_lo:[0,1] neg_hi:[0,1]
	v_pk_add_f32 v[50:51], v[50:51], v[54:55]
	v_fma_f32 v54, -0.5, v59, v47
	v_fma_f32 v46, -0.5, v58, v46
	v_pk_fma_f32 v[44:45], v[62:63], 0.5, v[44:45] op_sel_hi:[1,0,1] neg_lo:[1,0,0] neg_hi:[1,0,0]
	v_fmamk_f32 v58, v60, 0x3f5db3d7, v54
	v_fmac_f32_e32 v54, 0xbf5db3d7, v60
	v_pk_mul_f32 v[48:49], v[48:49], s[2:3] op_sel_hi:[1,0]
	v_pk_add_f32 v[52:53], v[56:57], v[52:53]
	v_fmamk_f32 v56, v61, 0xbf5db3d7, v46
	v_fmac_f32_e32 v46, 0x3f5db3d7, v61
	v_pk_add_f32 v[60:61], v[44:45], v[48:49] op_sel:[0,1] op_sel_hi:[1,0] neg_lo:[0,1] neg_hi:[0,1]
	v_pk_add_f32 v[48:49], v[44:45], v[48:49] op_sel:[0,1] op_sel_hi:[1,0]
	v_pk_mul_f32 v[44:45], v[54:55], s[12:13] op_sel_hi:[0,1]
	v_pk_fma_f32 v[54:55], v[46:47], s[8:9], v[44:45] op_sel_hi:[0,1,1] neg_lo:[0,0,1] neg_hi:[0,0,1]
	v_mov_b32_e32 v63, v49
	v_mov_b32_e32 v49, v61
	v_pk_add_f32 v[46:47], v[52:53], v[50:51] neg_lo:[0,1] neg_hi:[0,1]
	v_pk_add_f32 v[44:45], v[48:49], v[54:55]
	ds_write_b128 v39, v[44:47] offset:16
	v_pk_mul_f32 v[44:45], v[58:59], s[12:13] op_sel_hi:[0,1]
	v_pk_fma_f32 v[58:59], v[56:57], s[14:15], v[44:45] neg_lo:[0,0,1] neg_hi:[0,0,1]
	v_pk_fma_f32 v[44:45], v[56:57], s[14:15], v[44:45] op_sel_hi:[0,1,1]
	v_mov_b32_e32 v62, v60
	v_mov_b32_e32 v59, v45
	v_pk_add_f32 v[44:45], v[52:53], v[50:51]
	v_pk_add_f32 v[50:51], v[48:49], v[54:55] neg_lo:[0,1] neg_hi:[0,1]
	v_pk_add_f32 v[46:47], v[62:63], v[58:59]
	v_pk_add_f32 v[48:49], v[62:63], v[58:59] neg_lo:[0,1] neg_hi:[0,1]
	ds_write_b128 v39, v[44:47]
	ds_write_b128 v39, v[48:51] offset:32
	s_waitcnt lgkmcnt(0)
	s_barrier
	ds_read2_b64 v[44:47], v37 offset1:36
	ds_read2_b64 v[48:51], v37 offset0:72 offset1:108
	s_waitcnt lgkmcnt(1)
	v_pk_mul_f32 v[52:53], v[4:5], v[46:47] op_sel:[1,0]
	s_waitcnt lgkmcnt(0)
	v_pk_mul_f32 v[54:55], v[36:37], v[48:49] op_sel_hi:[0,1]
	v_pk_fma_f32 v[56:57], v[4:5], v[46:47], v[52:53] op_sel:[0,0,1] op_sel_hi:[0,1,0]
	v_pk_fma_f32 v[46:47], v[4:5], v[46:47], v[52:53] op_sel:[0,0,1] op_sel_hi:[0,1,0] neg_lo:[0,0,1] neg_hi:[0,0,1]
	v_pk_mul_f32 v[4:5], v[0:1], v[50:51] op_sel:[1,0]
	v_pk_fma_f32 v[52:53], v[6:7], v[48:49], v[54:55] op_sel:[0,0,1] op_sel_hi:[1,1,0]
	v_pk_fma_f32 v[48:49], v[6:7], v[48:49], v[54:55] op_sel:[0,0,1] op_sel_hi:[0,1,0] neg_lo:[0,0,1] neg_hi:[0,0,1]
	v_pk_fma_f32 v[54:55], v[0:1], v[50:51], v[4:5] op_sel:[0,0,1] op_sel_hi:[1,1,0]
	v_pk_fma_f32 v[0:1], v[0:1], v[50:51], v[4:5] op_sel:[0,0,1] op_sel_hi:[0,1,0] neg_lo:[0,0,1] neg_hi:[0,0,1]
	ds_read2_b64 v[4:7], v37 offset0:144 offset1:180
	v_mov_b32_e32 v55, v1
	v_mov_b32_e32 v53, v49
	v_mov_b32_e32 v57, v47
	s_waitcnt lgkmcnt(0)
	v_pk_mul_f32 v[50:51], v[34:35], v[4:5] op_sel_hi:[0,1]
	v_pk_fma_f32 v[0:1], v[2:3], v[4:5], v[50:51] op_sel:[0,0,1] op_sel_hi:[1,1,0]
	v_pk_fma_f32 v[2:3], v[2:3], v[4:5], v[50:51] op_sel:[0,0,1] op_sel_hi:[0,1,0] neg_lo:[0,0,1] neg_hi:[0,0,1]
	v_mov_b32_e32 v1, v3
	v_pk_mul_f32 v[2:3], v[30:31], v[6:7] op_sel:[1,0]
	s_barrier
	v_pk_fma_f32 v[4:5], v[30:31], v[6:7], v[2:3] op_sel:[0,0,1] op_sel_hi:[1,1,0]
	v_pk_fma_f32 v[2:3], v[30:31], v[6:7], v[2:3] op_sel:[0,0,1] op_sel_hi:[0,1,0] neg_lo:[0,0,1] neg_hi:[0,0,1]
	v_mov_b32_e32 v5, v3
	v_pk_add_f32 v[6:7], v[54:55], v[4:5]
	v_pk_add_f32 v[2:3], v[44:45], v[52:53]
	v_mov_b32_e32 v30, v56
	v_pk_add_f32 v[50:51], v[54:55], v[4:5] neg_lo:[0,1] neg_hi:[0,1]
	v_pk_add_f32 v[54:55], v[56:57], v[54:55]
	v_fmac_f32_e32 v47, -0.5, v7
	v_pk_add_f32 v[2:3], v[2:3], v[0:1]
	v_fmac_f32_e32 v30, -0.5, v6
	v_pk_add_f32 v[4:5], v[54:55], v[4:5]
	v_fmamk_f32 v34, v50, 0x3f5db3d7, v47
	v_pk_add_f32 v[54:55], v[52:53], v[0:1]
	v_pk_add_f32 v[0:1], v[52:53], v[0:1] neg_lo:[0,1] neg_hi:[0,1]
	v_fmamk_f32 v6, v51, 0xbf5db3d7, v30
	v_pk_fma_f32 v[44:45], v[54:55], 0.5, v[44:45] op_sel_hi:[1,0,1] neg_lo:[1,0,0] neg_hi:[1,0,0]
	v_pk_mul_f32 v[0:1], v[0:1], s[2:3] op_sel_hi:[1,0]
	v_pk_mul_f32 v[54:55], v[34:35], s[12:13] op_sel_hi:[0,1]
	v_pk_add_f32 v[52:53], v[44:45], v[0:1] op_sel:[0,1] op_sel_hi:[1,0] neg_lo:[0,1] neg_hi:[0,1]
	v_pk_add_f32 v[0:1], v[44:45], v[0:1] op_sel:[0,1] op_sel_hi:[1,0]
	v_pk_fma_f32 v[56:57], v[6:7], s[14:15], v[54:55] neg_lo:[0,0,1] neg_hi:[0,0,1]
	v_pk_fma_f32 v[6:7], v[6:7], s[14:15], v[54:55] op_sel_hi:[0,1,1]
	v_mov_b32_e32 v44, v52
	v_mov_b32_e32 v45, v1
	;; [unrolled: 1-line block ×3, first 2 shown]
	v_fmac_f32_e32 v30, 0x3f5db3d7, v51
	v_fmac_f32_e32 v47, 0xbf5db3d7, v50
	v_pk_add_f32 v[50:51], v[2:3], v[4:5]
	v_pk_add_f32 v[6:7], v[44:45], v[56:57]
	ds_write2_b64 v42, v[50:51], v[6:7] offset1:6
	v_mov_b32_e32 v6, v47
	v_pk_mul_f32 v[6:7], v[6:7], s[12:13] op_sel_hi:[0,1]
	v_pk_fma_f32 v[6:7], v[30:31], s[8:9], v[6:7] op_sel_hi:[0,1,1] neg_lo:[0,0,1] neg_hi:[0,0,1]
	v_mov_b32_e32 v1, v53
	v_pk_add_f32 v[30:31], v[0:1], v[6:7]
	v_pk_add_f32 v[2:3], v[2:3], v[4:5] neg_lo:[0,1] neg_hi:[0,1]
	ds_write2_b64 v42, v[30:31], v[2:3] offset0:12 offset1:18
	v_pk_add_f32 v[2:3], v[44:45], v[56:57] neg_lo:[0,1] neg_hi:[0,1]
	v_pk_add_f32 v[0:1], v[0:1], v[6:7] neg_lo:[0,1] neg_hi:[0,1]
	ds_write2_b64 v42, v[2:3], v[0:1] offset0:24 offset1:30
	s_waitcnt lgkmcnt(0)
	s_barrier
	ds_read2_b64 v[0:3], v37 offset1:36
	ds_read2_b64 v[4:7], v37 offset0:72 offset1:108
	ds_read2_b64 v[42:45], v37 offset0:144 offset1:180
	v_mov_b32_e32 v48, s0
	v_mov_b32_e32 v49, s1
	v_mad_u64_u32 v[30:31], s[0:1], s6, v16, 0
	s_waitcnt lgkmcnt(2)
	v_pk_mul_f32 v[46:47], v[12:13], v[2:3] op_sel:[1,0]
	s_nop 0
	v_pk_fma_f32 v[50:51], v[12:13], v[2:3], v[46:47] op_sel:[0,0,1] op_sel_hi:[0,1,0]
	v_pk_fma_f32 v[2:3], v[12:13], v[2:3], v[46:47] op_sel:[0,0,1] op_sel_hi:[0,1,0] neg_lo:[0,0,1] neg_hi:[0,0,1]
	s_waitcnt lgkmcnt(1)
	v_pk_mul_f32 v[12:13], v[38:39], v[4:5] op_sel_hi:[0,1]
	v_pk_fma_f32 v[38:39], v[14:15], v[4:5], v[12:13] op_sel:[0,0,1] op_sel_hi:[1,1,0]
	v_pk_fma_f32 v[4:5], v[14:15], v[4:5], v[12:13] op_sel:[0,0,1] op_sel_hi:[0,1,0] neg_lo:[0,0,1] neg_hi:[0,0,1]
	v_mov_b32_e32 v39, v5
	v_pk_mul_f32 v[4:5], v[8:9], v[6:7] op_sel:[1,0]
	v_mov_b32_e32 v51, v3
	v_pk_fma_f32 v[12:13], v[8:9], v[6:7], v[4:5] op_sel:[0,0,1] op_sel_hi:[1,1,0]
	v_pk_fma_f32 v[4:5], v[8:9], v[6:7], v[4:5] op_sel:[0,0,1] op_sel_hi:[0,1,0] neg_lo:[0,0,1] neg_hi:[0,0,1]
	v_mov_b32_e32 v13, v5
	s_waitcnt lgkmcnt(0)
	v_pk_mul_f32 v[4:5], v[40:41], v[42:43] op_sel_hi:[0,1]
	v_pk_fma_f32 v[6:7], v[10:11], v[42:43], v[4:5] op_sel:[0,0,1] op_sel_hi:[1,1,0]
	v_pk_fma_f32 v[4:5], v[10:11], v[42:43], v[4:5] op_sel:[0,0,1] op_sel_hi:[0,1,0] neg_lo:[0,0,1] neg_hi:[0,0,1]
	v_mov_b32_e32 v7, v5
	v_pk_mul_f32 v[4:5], v[32:33], v[44:45] op_sel:[1,0]
	v_mov_b32_e32 v2, v50
	v_pk_fma_f32 v[8:9], v[32:33], v[44:45], v[4:5] op_sel:[0,0,1] op_sel_hi:[1,1,0]
	v_pk_fma_f32 v[4:5], v[32:33], v[44:45], v[4:5] op_sel:[0,0,1] op_sel_hi:[0,1,0] neg_lo:[0,0,1] neg_hi:[0,0,1]
	v_mov_b32_e32 v9, v5
	v_pk_add_f32 v[10:11], v[12:13], v[8:9]
	v_pk_add_f32 v[4:5], v[0:1], v[38:39]
	v_pk_add_f32 v[14:15], v[12:13], v[8:9] neg_lo:[0,1] neg_hi:[0,1]
	v_pk_add_f32 v[12:13], v[50:51], v[12:13]
	v_fmac_f32_e32 v3, -0.5, v11
	v_pk_add_f32 v[4:5], v[4:5], v[6:7]
	v_fmac_f32_e32 v2, -0.5, v10
	v_pk_add_f32 v[8:9], v[12:13], v[8:9]
	v_fmamk_f32 v12, v14, 0x3f5db3d7, v3
	v_pk_add_f32 v[32:33], v[38:39], v[6:7]
	v_pk_add_f32 v[6:7], v[38:39], v[6:7] neg_lo:[0,1] neg_hi:[0,1]
	v_fmamk_f32 v10, v15, 0xbf5db3d7, v2
	v_pk_fma_f32 v[0:1], v[32:33], 0.5, v[0:1] op_sel_hi:[1,0,1] neg_lo:[1,0,0] neg_hi:[1,0,0]
	v_pk_mul_f32 v[6:7], v[6:7], s[2:3] op_sel_hi:[1,0]
	v_pk_mul_f32 v[12:13], v[12:13], s[12:13] op_sel_hi:[0,1]
	v_pk_add_f32 v[32:33], v[0:1], v[6:7] op_sel:[0,1] op_sel_hi:[1,0] neg_lo:[0,1] neg_hi:[0,1]
	v_pk_add_f32 v[0:1], v[0:1], v[6:7] op_sel:[0,1] op_sel_hi:[1,0]
	v_pk_fma_f32 v[38:39], v[10:11], s[14:15], v[12:13] neg_lo:[0,0,1] neg_hi:[0,0,1]
	v_pk_fma_f32 v[10:11], v[10:11], s[14:15], v[12:13] op_sel_hi:[0,1,1]
	v_mov_b32_e32 v6, v32
	v_mov_b32_e32 v7, v1
	;; [unrolled: 1-line block ×3, first 2 shown]
	v_fmac_f32_e32 v2, 0x3f5db3d7, v15
	v_fmac_f32_e32 v3, 0xbf5db3d7, v14
	v_pk_add_f32 v[14:15], v[4:5], v[8:9]
	v_pk_add_f32 v[10:11], v[6:7], v[38:39]
	ds_write2_b64 v37, v[14:15], v[10:11] offset1:36
	v_mov_b32_e32 v10, v3
	v_pk_mul_f32 v[10:11], v[10:11], s[12:13] op_sel_hi:[0,1]
	v_pk_fma_f32 v[2:3], v[2:3], s[8:9], v[10:11] op_sel_hi:[0,1,1] neg_lo:[0,0,1] neg_hi:[0,0,1]
	v_mov_b32_e32 v1, v33
	v_pk_add_f32 v[10:11], v[0:1], v[2:3]
	v_pk_add_f32 v[4:5], v[4:5], v[8:9] neg_lo:[0,1] neg_hi:[0,1]
	ds_write2_b64 v37, v[10:11], v[4:5] offset0:72 offset1:108
	v_pk_add_f32 v[4:5], v[6:7], v[38:39] neg_lo:[0,1] neg_hi:[0,1]
	v_pk_add_f32 v[0:1], v[0:1], v[2:3] neg_lo:[0,1] neg_hi:[0,1]
	ds_write2_b64 v37, v[4:5], v[0:1] offset0:144 offset1:180
	s_waitcnt lgkmcnt(0)
	s_barrier
	ds_read2_b64 v[0:3], v37 offset1:36
	v_mov_b32_e32 v4, v31
	v_mad_u64_u32 v[4:5], s[0:1], s7, v16, v[4:5]
	v_mov_b32_e32 v31, v4
	s_waitcnt lgkmcnt(0)
	v_mul_f32_e32 v4, v29, v1
	v_fmac_f32_e32 v4, v28, v0
	v_mul_f32_e32 v0, v29, v0
	s_mov_b32 s0, 0xbda12f68
	v_fma_f32 v0, v28, v1, -v0
	v_cvt_f64_f32_e32 v[4:5], v4
	s_mov_b32 s1, 0x3f72f684
	v_cvt_f64_f32_e32 v[0:1], v0
	v_mul_f64 v[4:5], v[4:5], s[0:1]
	v_mul_f64 v[0:1], v[0:1], s[0:1]
	v_cvt_f32_f64_e32 v4, v[4:5]
	v_cvt_f32_f64_e32 v5, v[0:1]
	v_mad_u64_u32 v[0:1], s[2:3], s4, v35, 0
	v_mov_b32_e32 v6, v1
	v_mad_u64_u32 v[6:7], s[2:3], s5, v35, v[6:7]
	v_mov_b32_e32 v1, v6
	v_lshl_add_u64 v[6:7], v[30:31], 3, v[48:49]
	v_lshl_add_u64 v[6:7], v[0:1], 3, v[6:7]
	v_mul_f32_e32 v0, v27, v3
	v_fmac_f32_e32 v0, v26, v2
	v_cvt_f64_f32_e32 v[0:1], v0
	v_mul_f64 v[0:1], v[0:1], s[0:1]
	global_store_dwordx2 v[6:7], v[4:5], off
	v_cvt_f32_f64_e32 v4, v[0:1]
	v_mul_f32_e32 v0, v27, v2
	v_fma_f32 v0, v26, v3, -v0
	v_cvt_f64_f32_e32 v[0:1], v0
	v_mul_f64 v[0:1], v[0:1], s[0:1]
	v_cvt_f32_f64_e32 v5, v[0:1]
	ds_read2_b64 v[0:3], v37 offset0:72 offset1:108
	v_mad_u64_u32 v[6:7], s[2:3], s4, v17, v[6:7]
	s_mulk_i32 s5, 0x120
	v_add_u32_e32 v7, s5, v7
	global_store_dwordx2 v[6:7], v[4:5], off
	s_waitcnt lgkmcnt(0)
	v_mul_f32_e32 v4, v25, v1
	v_fmac_f32_e32 v4, v24, v0
	v_mul_f32_e32 v0, v25, v0
	v_fma_f32 v0, v24, v1, -v0
	v_cvt_f64_f32_e32 v[4:5], v4
	v_cvt_f64_f32_e32 v[0:1], v0
	v_mul_f64 v[4:5], v[4:5], s[0:1]
	v_mul_f64 v[0:1], v[0:1], s[0:1]
	v_cvt_f32_f64_e32 v4, v[4:5]
	v_cvt_f32_f64_e32 v5, v[0:1]
	v_mul_f32_e32 v0, v23, v3
	v_fmac_f32_e32 v0, v22, v2
	v_mad_u64_u32 v[6:7], s[2:3], s4, v17, v[6:7]
	v_cvt_f64_f32_e32 v[0:1], v0
	v_add_u32_e32 v7, s5, v7
	v_mul_f64 v[0:1], v[0:1], s[0:1]
	global_store_dwordx2 v[6:7], v[4:5], off
	v_cvt_f32_f64_e32 v4, v[0:1]
	v_mul_f32_e32 v0, v23, v2
	v_fma_f32 v0, v22, v3, -v0
	v_cvt_f64_f32_e32 v[0:1], v0
	v_mul_f64 v[0:1], v[0:1], s[0:1]
	v_cvt_f32_f64_e32 v5, v[0:1]
	ds_read2_b64 v[0:3], v37 offset0:144 offset1:180
	v_mad_u64_u32 v[6:7], s[2:3], s4, v17, v[6:7]
	v_add_u32_e32 v7, s5, v7
	global_store_dwordx2 v[6:7], v[4:5], off
	s_waitcnt lgkmcnt(0)
	v_mul_f32_e32 v4, v21, v1
	v_fmac_f32_e32 v4, v20, v0
	v_mul_f32_e32 v0, v21, v0
	v_fma_f32 v0, v20, v1, -v0
	v_cvt_f64_f32_e32 v[4:5], v4
	v_cvt_f64_f32_e32 v[0:1], v0
	v_mul_f64 v[4:5], v[4:5], s[0:1]
	v_mul_f64 v[0:1], v[0:1], s[0:1]
	v_cvt_f32_f64_e32 v4, v[4:5]
	v_cvt_f32_f64_e32 v5, v[0:1]
	v_mad_u64_u32 v[0:1], s[2:3], s4, v17, v[6:7]
	v_add_u32_e32 v1, s5, v1
	global_store_dwordx2 v[0:1], v[4:5], off
	v_mul_f32_e32 v4, v19, v3
	v_fmac_f32_e32 v4, v18, v2
	v_mul_f32_e32 v2, v19, v2
	v_fma_f32 v2, v18, v3, -v2
	v_cvt_f64_f32_e32 v[4:5], v4
	v_cvt_f64_f32_e32 v[2:3], v2
	v_mul_f64 v[4:5], v[4:5], s[0:1]
	v_mul_f64 v[2:3], v[2:3], s[0:1]
	v_mad_u64_u32 v[0:1], s[0:1], s4, v17, v[0:1]
	v_cvt_f32_f64_e32 v4, v[4:5]
	v_cvt_f32_f64_e32 v5, v[2:3]
	v_add_u32_e32 v1, s5, v1
	global_store_dwordx2 v[0:1], v[4:5], off
.LBB0_2:
	s_endpgm
	.section	.rodata,"a",@progbits
	.p2align	6, 0x0
	.amdhsa_kernel bluestein_single_fwd_len216_dim1_sp_op_CI_CI
		.amdhsa_group_segment_fixed_size 12096
		.amdhsa_private_segment_fixed_size 0
		.amdhsa_kernarg_size 104
		.amdhsa_user_sgpr_count 2
		.amdhsa_user_sgpr_dispatch_ptr 0
		.amdhsa_user_sgpr_queue_ptr 0
		.amdhsa_user_sgpr_kernarg_segment_ptr 1
		.amdhsa_user_sgpr_dispatch_id 0
		.amdhsa_user_sgpr_kernarg_preload_length 0
		.amdhsa_user_sgpr_kernarg_preload_offset 0
		.amdhsa_user_sgpr_private_segment_size 0
		.amdhsa_uses_dynamic_stack 0
		.amdhsa_enable_private_segment 0
		.amdhsa_system_sgpr_workgroup_id_x 1
		.amdhsa_system_sgpr_workgroup_id_y 0
		.amdhsa_system_sgpr_workgroup_id_z 0
		.amdhsa_system_sgpr_workgroup_info 0
		.amdhsa_system_vgpr_workitem_id 0
		.amdhsa_next_free_vgpr 68
		.amdhsa_next_free_sgpr 20
		.amdhsa_accum_offset 68
		.amdhsa_reserve_vcc 1
		.amdhsa_float_round_mode_32 0
		.amdhsa_float_round_mode_16_64 0
		.amdhsa_float_denorm_mode_32 3
		.amdhsa_float_denorm_mode_16_64 3
		.amdhsa_dx10_clamp 1
		.amdhsa_ieee_mode 1
		.amdhsa_fp16_overflow 0
		.amdhsa_tg_split 0
		.amdhsa_exception_fp_ieee_invalid_op 0
		.amdhsa_exception_fp_denorm_src 0
		.amdhsa_exception_fp_ieee_div_zero 0
		.amdhsa_exception_fp_ieee_overflow 0
		.amdhsa_exception_fp_ieee_underflow 0
		.amdhsa_exception_fp_ieee_inexact 0
		.amdhsa_exception_int_div_zero 0
	.end_amdhsa_kernel
	.text
.Lfunc_end0:
	.size	bluestein_single_fwd_len216_dim1_sp_op_CI_CI, .Lfunc_end0-bluestein_single_fwd_len216_dim1_sp_op_CI_CI
                                        ; -- End function
	.section	.AMDGPU.csdata,"",@progbits
; Kernel info:
; codeLenInByte = 3988
; NumSgprs: 26
; NumVgprs: 68
; NumAgprs: 0
; TotalNumVgprs: 68
; ScratchSize: 0
; MemoryBound: 0
; FloatMode: 240
; IeeeMode: 1
; LDSByteSize: 12096 bytes/workgroup (compile time only)
; SGPRBlocks: 3
; VGPRBlocks: 8
; NumSGPRsForWavesPerEU: 26
; NumVGPRsForWavesPerEU: 68
; AccumOffset: 68
; Occupancy: 7
; WaveLimiterHint : 1
; COMPUTE_PGM_RSRC2:SCRATCH_EN: 0
; COMPUTE_PGM_RSRC2:USER_SGPR: 2
; COMPUTE_PGM_RSRC2:TRAP_HANDLER: 0
; COMPUTE_PGM_RSRC2:TGID_X_EN: 1
; COMPUTE_PGM_RSRC2:TGID_Y_EN: 0
; COMPUTE_PGM_RSRC2:TGID_Z_EN: 0
; COMPUTE_PGM_RSRC2:TIDIG_COMP_CNT: 0
; COMPUTE_PGM_RSRC3_GFX90A:ACCUM_OFFSET: 16
; COMPUTE_PGM_RSRC3_GFX90A:TG_SPLIT: 0
	.text
	.p2alignl 6, 3212836864
	.fill 256, 4, 3212836864
	.type	__hip_cuid_84ace7cb4aa0392,@object ; @__hip_cuid_84ace7cb4aa0392
	.section	.bss,"aw",@nobits
	.globl	__hip_cuid_84ace7cb4aa0392
__hip_cuid_84ace7cb4aa0392:
	.byte	0                               ; 0x0
	.size	__hip_cuid_84ace7cb4aa0392, 1

	.ident	"AMD clang version 19.0.0git (https://github.com/RadeonOpenCompute/llvm-project roc-6.4.0 25133 c7fe45cf4b819c5991fe208aaa96edf142730f1d)"
	.section	".note.GNU-stack","",@progbits
	.addrsig
	.addrsig_sym __hip_cuid_84ace7cb4aa0392
	.amdgpu_metadata
---
amdhsa.kernels:
  - .agpr_count:     0
    .args:
      - .actual_access:  read_only
        .address_space:  global
        .offset:         0
        .size:           8
        .value_kind:     global_buffer
      - .actual_access:  read_only
        .address_space:  global
        .offset:         8
        .size:           8
        .value_kind:     global_buffer
      - .actual_access:  read_only
        .address_space:  global
        .offset:         16
        .size:           8
        .value_kind:     global_buffer
      - .actual_access:  read_only
        .address_space:  global
        .offset:         24
        .size:           8
        .value_kind:     global_buffer
      - .actual_access:  read_only
        .address_space:  global
        .offset:         32
        .size:           8
        .value_kind:     global_buffer
      - .offset:         40
        .size:           8
        .value_kind:     by_value
      - .address_space:  global
        .offset:         48
        .size:           8
        .value_kind:     global_buffer
      - .address_space:  global
        .offset:         56
        .size:           8
        .value_kind:     global_buffer
      - .address_space:  global
        .offset:         64
        .size:           8
        .value_kind:     global_buffer
      - .address_space:  global
        .offset:         72
        .size:           8
        .value_kind:     global_buffer
      - .offset:         80
        .size:           4
        .value_kind:     by_value
      - .address_space:  global
        .offset:         88
        .size:           8
        .value_kind:     global_buffer
      - .address_space:  global
        .offset:         96
        .size:           8
        .value_kind:     global_buffer
    .group_segment_fixed_size: 12096
    .kernarg_segment_align: 8
    .kernarg_segment_size: 104
    .language:       OpenCL C
    .language_version:
      - 2
      - 0
    .max_flat_workgroup_size: 252
    .name:           bluestein_single_fwd_len216_dim1_sp_op_CI_CI
    .private_segment_fixed_size: 0
    .sgpr_count:     26
    .sgpr_spill_count: 0
    .symbol:         bluestein_single_fwd_len216_dim1_sp_op_CI_CI.kd
    .uniform_work_group_size: 1
    .uses_dynamic_stack: false
    .vgpr_count:     68
    .vgpr_spill_count: 0
    .wavefront_size: 64
amdhsa.target:   amdgcn-amd-amdhsa--gfx950
amdhsa.version:
  - 1
  - 2
...

	.end_amdgpu_metadata
